;; amdgpu-corpus repo=zjin-lcf/HeCBench kind=compiled arch=gfx950 opt=O3
	.amdgcn_target "amdgcn-amd-amdhsa--gfx950"
	.amdhsa_code_object_version 6
	.text
	.protected	_Z15test_keystreamsPKcS0_S0_PKhPhS3_S3_S3_iii ; -- Begin function _Z15test_keystreamsPKcS0_S0_PKhPhS3_S3_S3_iii
	.globl	_Z15test_keystreamsPKcS0_S0_PKhPhS3_S3_S3_iii
	.p2align	8
	.type	_Z15test_keystreamsPKcS0_S0_PKhPhS3_S3_S3_iii,@function
_Z15test_keystreamsPKcS0_S0_PKhPhS3_S3_S3_iii: ; @_Z15test_keystreamsPKcS0_S0_PKhPhS3_S3_S3_iii
; %bb.0:
	s_load_dwordx4 s[8:11], s[0:1], 0x40
	s_load_dwordx4 s[4:7], s[0:1], 0x18
	s_load_dwordx2 s[12:13], s[0:1], 0x28
	v_mov_b32_e32 v10, v0
	v_add_u32_e32 v1, 1, v0
	s_waitcnt lgkmcnt(0)
	s_lshr_b32 s2, s8, 31
	s_add_i32 s2, s8, s2
	s_ashr_i32 s8, s2, 1
	v_cmp_gt_i32_e32 vcc, s8, v0
	s_and_saveexec_b64 s[2:3], vcc
	s_cbranch_execz .LBB0_8
; %bb.1:
	s_load_dword s11, s[0:1], 0x5c
	s_load_dwordx2 s[16:17], s[0:1], 0x0
	v_max_i32_e32 v2, s8, v1
	v_sub_u32_e32 v11, v2, v0
	v_cmp_lt_u32_e32 vcc, 7, v11
	s_waitcnt lgkmcnt(0)
	s_and_b32 s14, s11, 0xffff
	s_cmp_eq_u32 s14, 1
	s_cselect_b64 s[18:19], -1, 0
	s_and_b64 s[22:23], vcc, s[18:19]
	s_mov_b64 s[20:21], -1
	v_mov_b32_e32 v2, v10
	s_and_saveexec_b64 s[18:19], s[22:23]
	s_cbranch_execz .LBB0_5
; %bb.2:
	v_add_u32_e32 v7, 7, v0
	v_add_u32_e32 v6, 6, v0
	;; [unrolled: 1-line block ×6, first 2 shown]
	v_and_b32_e32 v14, -8, v11
	v_mov_b64_e32 v[8:9], v[6:7]
	s_mov_b64 s[20:21], 0
	v_mov_b32_e32 v13, 0
	s_mov_b32 s11, 0x5040100
	v_mov_b32_e32 v15, v10
	v_mov_b32_e32 v16, v14
	v_mov_b64_e32 v[6:7], v[4:5]
	v_mov_b64_e32 v[4:5], v[2:3]
	;; [unrolled: 1-line block ×3, first 2 shown]
.LBB0_3:                                ; =>This Inner Loop Header: Depth=1
	v_lshlrev_b32_e32 v28, 1, v4
	v_mov_b32_e32 v29, v13
	v_lshlrev_b32_e32 v18, 1, v9
	v_lshlrev_b32_e32 v20, 1, v8
	;; [unrolled: 1-line block ×7, first 2 shown]
	v_mov_b32_e32 v31, v13
	v_mov_b32_e32 v27, v13
	v_mov_b32_e32 v25, v13
	v_mov_b32_e32 v23, v13
	v_mov_b32_e32 v21, v13
	v_mov_b32_e32 v19, v13
	v_lshl_add_u64 v[28:29], s[16:17], 0, v[28:29]
	v_lshl_add_u64 v[32:33], s[16:17], 0, v[12:13]
	;; [unrolled: 1-line block ×8, first 2 shown]
	global_load_ushort v12, v[28:29], off
	global_load_ushort v17, v[26:27], off
	;; [unrolled: 1-line block ×8, first 2 shown]
	v_add_u32_e32 v16, -8, v16
	v_cmp_eq_u32_e32 vcc, 0, v16
	v_add_u32_e32 v9, 8, v9
	v_add_u32_e32 v8, 8, v8
	;; [unrolled: 1-line block ×8, first 2 shown]
	s_or_b64 s[20:21], vcc, s[20:21]
	s_waitcnt vmcnt(6)
	v_perm_b32 v17, v17, v12, s11
	v_lshrrev_b16_e32 v12, 8, v12
	s_waitcnt vmcnt(5)
	v_lshrrev_b16_e32 v27, 8, v34
	s_waitcnt vmcnt(3)
	v_perm_b32 v19, v36, v35, s11
	s_waitcnt vmcnt(2)
	v_perm_b32 v21, v37, v34, s11
	s_waitcnt vmcnt(1)
	v_lshrrev_b16_e32 v25, 8, v38
	s_waitcnt vmcnt(0)
	v_perm_b32 v23, v39, v38, s11
	v_lshrrev_b16_e32 v26, 8, v35
	v_lshrrev_b32_e32 v29, 16, v19
	v_bfe_i32 v18, v19, 0, 8
	v_lshrrev_b32_e32 v31, 16, v21
	v_lshrrev_b32_e32 v33, 16, v17
	v_bfe_i32 v22, v17, 0, 8
	v_lshrrev_b32_e32 v35, 16, v23
	v_lshrrev_b32_e32 v37, 24, v23
	;; [unrolled: 1-line block ×5, first 2 shown]
	v_bfe_i32 v32, v25, 0, 8
	v_bfe_i32 v20, v21, 0, 8
	;; [unrolled: 1-line block ×7, first 2 shown]
	v_ashrrev_i32_e32 v19, 31, v18
	v_bfe_i32 v36, v31, 0, 8
	v_bfe_i32 v38, v33, 0, 8
	;; [unrolled: 1-line block ×7, first 2 shown]
	v_ashrrev_i32_e32 v33, 31, v32
	v_ashrrev_i32_e32 v21, 31, v20
	;; [unrolled: 1-line block ×11, first 2 shown]
	v_lshl_add_u64 v[18:19], s[4:5], 0, v[18:19]
	v_ashrrev_i32_e32 v43, 31, v42
	v_ashrrev_i32_e32 v45, 31, v44
	v_ashrrev_i32_e32 v47, 31, v46
	v_ashrrev_i32_e32 v49, 31, v48
	v_lshl_add_u64 v[32:33], s[4:5], 0, v[32:33]
	v_lshl_add_u64 v[24:25], s[4:5], 0, v[24:25]
	;; [unrolled: 1-line block ×15, first 2 shown]
	global_load_ubyte v12, v[32:33], off
	global_load_ubyte v17, v[24:25], off
	global_load_ubyte v50, v[22:23], off
	global_load_ubyte v51, v[18:19], off
	global_load_ubyte v52, v[20:21], off
	global_load_ubyte v53, v[44:45], off
	global_load_ubyte v54, v[36:37], off
	global_load_ubyte v55, v[42:43], off
	global_load_ubyte v56, v[34:35], off
	global_load_ubyte v57, v[48:49], off
	global_load_ubyte v58, v[40:41], off
	global_load_ubyte v59, v[46:47], off
	global_load_ubyte v60, v[38:39], off
	global_load_ubyte v61, v[28:29], off
	global_load_ubyte v62, v[26:27], off
                                        ; kill: killed $vgpr38_vgpr39
                                        ; kill: killed $vgpr42_vgpr43
                                        ; kill: killed $vgpr32_vgpr33
                                        ; kill: killed $vgpr40_vgpr41
                                        ; kill: killed $vgpr44_vgpr45
                                        ; kill: killed $vgpr18_vgpr19
                                        ; kill: killed $vgpr46_vgpr47
                                        ; kill: killed $vgpr20_vgpr21
                                        ; kill: killed $vgpr48_vgpr49
                                        ; kill: killed $vgpr22_vgpr23
                                        ; kill: killed $vgpr26_vgpr27
                                        ; kill: killed $vgpr34_vgpr35
                                        ; kill: killed $vgpr24_vgpr25
                                        ; kill: killed $vgpr28_vgpr29
                                        ; kill: killed $vgpr36_vgpr37
	global_load_ubyte v18, v[30:31], off
	s_waitcnt vmcnt(14)
	v_lshlrev_b16_e32 v17, 4, v17
	s_waitcnt vmcnt(13)
	v_lshlrev_b16_e32 v19, 4, v50
	;; [unrolled: 2-line block ×3, first 2 shown]
	v_and_b32_e32 v17, 0xf0, v17
	s_waitcnt vmcnt(10)
	v_lshlrev_b16_e32 v22, 8, v53
	s_waitcnt vmcnt(9)
	v_lshlrev_b16_e32 v23, 12, v54
	;; [unrolled: 2-line block ×8, first 2 shown]
	v_lshlrev_b16_e32 v21, 4, v52
	v_and_b32_e32 v19, 0xf0, v19
	v_and_b32_e32 v20, 0xf0, v20
	v_or_b32_e32 v22, v23, v22
	v_or_b32_e32 v23, v25, v24
	;; [unrolled: 1-line block ×4, first 2 shown]
	v_and_b32_e32 v21, 0xf0, v21
	s_waitcnt vmcnt(1)
	v_bitop3_b16 v20, v62, v23, v20 bitop3:0xfe
	v_bitop3_b16 v12, v12, v24, v17 bitop3:0xfe
	;; [unrolled: 1-line block ×3, first 2 shown]
	s_waitcnt vmcnt(0)
	v_bitop3_b16 v17, v18, v25, v19 bitop3:0xfe
	v_lshlrev_b32_e32 v18, 16, v20
	v_lshlrev_b32_e32 v17, 16, v17
	v_or_b32_sdwa v19, v21, v18 dst_sel:DWORD dst_unused:UNUSED_PAD src0_sel:WORD_0 src1_sel:DWORD
	v_or_b32_sdwa v18, v12, v17 dst_sel:DWORD dst_unused:UNUSED_PAD src0_sel:WORD_0 src1_sel:DWORD
	global_store_dwordx2 v15, v[18:19], s[6:7]
	v_add_u32_e32 v15, 8, v15
	s_andn2_b64 exec, exec, s[20:21]
	s_cbranch_execnz .LBB0_3
; %bb.4:
	s_or_b64 exec, exec, s[20:21]
	v_cmp_ne_u32_e32 vcc, v11, v14
	v_add_u32_e32 v2, v0, v14
	s_orn2_b64 s[20:21], vcc, exec
.LBB0_5:
	s_or_b64 exec, exec, s[18:19]
	s_and_b64 exec, exec, s[20:21]
	s_cbranch_execz .LBB0_8
; %bb.6:
	v_mov_b32_e32 v3, 0
	v_lshlrev_b32_e32 v4, 1, v2
	v_mov_b32_e32 v5, v3
	s_mov_b32 s15, 0
	v_lshl_add_u64 v[4:5], s[16:17], 0, v[4:5]
	v_lshl_add_u64 v[4:5], v[4:5], 0, 1
	s_lshl_b32 s16, s14, 1
	s_mov_b32 s17, s15
	s_mov_b64 s[18:19], 0
.LBB0_7:                                ; =>This Inner Loop Header: Depth=1
	global_load_ushort v6, v[4:5], off offset:-1
	v_lshl_add_u64 v[4:5], v[4:5], 0, s[16:17]
	s_waitcnt vmcnt(0)
	v_lshrrev_b16_e32 v8, 8, v6
	v_bfe_i32 v6, v6, 0, 8
	v_ashrrev_i32_e32 v7, 31, v6
	v_bfe_i32 v8, v8, 0, 8
	v_lshl_add_u64 v[6:7], s[4:5], 0, v[6:7]
	v_ashrrev_i32_e32 v9, 31, v8
	v_lshl_add_u64 v[8:9], s[4:5], 0, v[8:9]
	global_load_ubyte v11, v[6:7], off
	global_load_ubyte v12, v[8:9], off
	v_lshl_add_u64 v[6:7], s[6:7], 0, v[2:3]
	v_lshl_add_u64 v[2:3], v[2:3], 0, s[14:15]
	v_cmp_le_i32_e32 vcc, s8, v2
	s_or_b64 s[18:19], vcc, s[18:19]
	s_waitcnt vmcnt(1)
	v_lshlrev_b16_e32 v8, 4, v11
	s_waitcnt vmcnt(0)
	v_or_b32_e32 v8, v12, v8
	global_store_byte v[6:7], v8, off
	s_andn2_b64 exec, exec, s[18:19]
	s_cbranch_execnz .LBB0_7
.LBB0_8:
	s_or_b64 exec, exec, s[2:3]
	s_lshr_b32 s2, s9, 31
	s_add_i32 s2, s9, s2
	s_ashr_i32 s11, s2, 1
	v_cmp_gt_i32_e32 vcc, s11, v0
	s_and_saveexec_b64 s[2:3], vcc
	s_cbranch_execz .LBB0_16
; %bb.9:
	s_load_dword s8, s[0:1], 0x5c
	s_load_dwordx2 s[14:15], s[0:1], 0x8
	v_max_i32_e32 v2, s11, v1
	v_sub_u32_e32 v11, v2, v0
	v_cmp_lt_u32_e32 vcc, 7, v11
	s_waitcnt lgkmcnt(0)
	s_and_b32 s8, s8, 0xffff
	s_cmp_eq_u32 s8, 1
	s_cselect_b64 s[16:17], -1, 0
	s_and_b64 s[20:21], vcc, s[16:17]
	s_mov_b64 s[18:19], -1
	v_mov_b32_e32 v2, v10
	s_and_saveexec_b64 s[16:17], s[20:21]
	s_cbranch_execz .LBB0_13
; %bb.10:
	v_add_u32_e32 v7, 7, v0
	v_add_u32_e32 v6, 6, v0
	;; [unrolled: 1-line block ×6, first 2 shown]
	v_and_b32_e32 v14, -8, v11
	v_mov_b64_e32 v[8:9], v[6:7]
	s_mov_b64 s[18:19], 0
	v_mov_b32_e32 v13, 0
	s_mov_b32 s9, 0x5040100
	v_mov_b32_e32 v15, v10
	v_mov_b32_e32 v16, v14
	v_mov_b64_e32 v[6:7], v[4:5]
	v_mov_b64_e32 v[4:5], v[2:3]
	;; [unrolled: 1-line block ×3, first 2 shown]
.LBB0_11:                               ; =>This Inner Loop Header: Depth=1
	v_lshlrev_b32_e32 v28, 1, v4
	v_mov_b32_e32 v29, v13
	v_lshlrev_b32_e32 v18, 1, v9
	v_lshlrev_b32_e32 v20, 1, v8
	;; [unrolled: 1-line block ×7, first 2 shown]
	v_mov_b32_e32 v31, v13
	v_mov_b32_e32 v27, v13
	;; [unrolled: 1-line block ×6, first 2 shown]
	v_lshl_add_u64 v[28:29], s[14:15], 0, v[28:29]
	v_lshl_add_u64 v[32:33], s[14:15], 0, v[12:13]
	;; [unrolled: 1-line block ×8, first 2 shown]
	global_load_ushort v12, v[28:29], off
	global_load_ushort v17, v[26:27], off
	global_load_ushort v34, v[24:25], off
	global_load_ushort v35, v[20:21], off
	global_load_ushort v36, v[18:19], off
	global_load_ushort v37, v[22:23], off
	global_load_ushort v38, v[32:33], off
	global_load_ushort v39, v[30:31], off
	v_add_u32_e32 v16, -8, v16
	v_cmp_eq_u32_e32 vcc, 0, v16
	v_add_u32_e32 v9, 8, v9
	v_add_u32_e32 v8, 8, v8
	;; [unrolled: 1-line block ×8, first 2 shown]
	s_or_b64 s[18:19], vcc, s[18:19]
	s_waitcnt vmcnt(6)
	v_perm_b32 v17, v17, v12, s9
	v_lshrrev_b16_e32 v12, 8, v12
	s_waitcnt vmcnt(5)
	v_lshrrev_b16_e32 v27, 8, v34
	s_waitcnt vmcnt(3)
	v_perm_b32 v19, v36, v35, s9
	s_waitcnt vmcnt(2)
	v_perm_b32 v21, v37, v34, s9
	s_waitcnt vmcnt(1)
	v_lshrrev_b16_e32 v25, 8, v38
	s_waitcnt vmcnt(0)
	v_perm_b32 v23, v39, v38, s9
	v_lshrrev_b16_e32 v26, 8, v35
	v_lshrrev_b32_e32 v29, 16, v19
	v_bfe_i32 v18, v19, 0, 8
	v_lshrrev_b32_e32 v31, 16, v21
	v_lshrrev_b32_e32 v33, 16, v17
	v_bfe_i32 v22, v17, 0, 8
	v_lshrrev_b32_e32 v35, 16, v23
	v_lshrrev_b32_e32 v37, 24, v23
	;; [unrolled: 1-line block ×5, first 2 shown]
	v_bfe_i32 v32, v25, 0, 8
	v_bfe_i32 v20, v21, 0, 8
	;; [unrolled: 1-line block ×7, first 2 shown]
	v_ashrrev_i32_e32 v19, 31, v18
	v_bfe_i32 v36, v31, 0, 8
	v_bfe_i32 v38, v33, 0, 8
	;; [unrolled: 1-line block ×7, first 2 shown]
	v_ashrrev_i32_e32 v33, 31, v32
	v_ashrrev_i32_e32 v21, 31, v20
	v_ashrrev_i32_e32 v23, 31, v22
	v_ashrrev_i32_e32 v25, 31, v24
	v_ashrrev_i32_e32 v27, 31, v26
	v_ashrrev_i32_e32 v29, 31, v28
	v_ashrrev_i32_e32 v31, 31, v30
	v_ashrrev_i32_e32 v35, 31, v34
	v_ashrrev_i32_e32 v37, 31, v36
	v_ashrrev_i32_e32 v39, 31, v38
	v_ashrrev_i32_e32 v41, 31, v40
	v_lshl_add_u64 v[18:19], s[4:5], 0, v[18:19]
	v_ashrrev_i32_e32 v43, 31, v42
	v_ashrrev_i32_e32 v45, 31, v44
	;; [unrolled: 1-line block ×4, first 2 shown]
	v_lshl_add_u64 v[32:33], s[4:5], 0, v[32:33]
	v_lshl_add_u64 v[24:25], s[4:5], 0, v[24:25]
	;; [unrolled: 1-line block ×15, first 2 shown]
	global_load_ubyte v12, v[32:33], off
	global_load_ubyte v17, v[24:25], off
	;; [unrolled: 1-line block ×15, first 2 shown]
                                        ; kill: killed $vgpr28_vgpr29
                                        ; kill: killed $vgpr36_vgpr37
                                        ; kill: killed $vgpr38_vgpr39
                                        ; kill: killed $vgpr42_vgpr43
                                        ; kill: killed $vgpr32_vgpr33
                                        ; kill: killed $vgpr40_vgpr41
                                        ; kill: killed $vgpr44_vgpr45
                                        ; kill: killed $vgpr18_vgpr19
                                        ; kill: killed $vgpr46_vgpr47
                                        ; kill: killed $vgpr20_vgpr21
                                        ; kill: killed $vgpr48_vgpr49
                                        ; kill: killed $vgpr22_vgpr23
                                        ; kill: killed $vgpr26_vgpr27
                                        ; kill: killed $vgpr34_vgpr35
                                        ; kill: killed $vgpr24_vgpr25
	global_load_ubyte v18, v[30:31], off
	s_waitcnt vmcnt(14)
	v_lshlrev_b16_e32 v17, 4, v17
	s_waitcnt vmcnt(13)
	v_lshlrev_b16_e32 v19, 4, v50
	;; [unrolled: 2-line block ×3, first 2 shown]
	v_and_b32_e32 v17, 0xf0, v17
	s_waitcnt vmcnt(10)
	v_lshlrev_b16_e32 v22, 8, v53
	s_waitcnt vmcnt(9)
	v_lshlrev_b16_e32 v23, 12, v54
	;; [unrolled: 2-line block ×8, first 2 shown]
	v_lshlrev_b16_e32 v21, 4, v52
	v_and_b32_e32 v19, 0xf0, v19
	v_and_b32_e32 v20, 0xf0, v20
	v_or_b32_e32 v22, v23, v22
	v_or_b32_e32 v23, v25, v24
	;; [unrolled: 1-line block ×4, first 2 shown]
	v_and_b32_e32 v21, 0xf0, v21
	s_waitcnt vmcnt(1)
	v_bitop3_b16 v20, v62, v23, v20 bitop3:0xfe
	v_bitop3_b16 v12, v12, v24, v17 bitop3:0xfe
	;; [unrolled: 1-line block ×3, first 2 shown]
	s_waitcnt vmcnt(0)
	v_bitop3_b16 v17, v18, v25, v19 bitop3:0xfe
	v_lshlrev_b32_e32 v18, 16, v20
	v_lshlrev_b32_e32 v17, 16, v17
	v_or_b32_sdwa v19, v21, v18 dst_sel:DWORD dst_unused:UNUSED_PAD src0_sel:WORD_0 src1_sel:DWORD
	v_or_b32_sdwa v18, v12, v17 dst_sel:DWORD dst_unused:UNUSED_PAD src0_sel:WORD_0 src1_sel:DWORD
	global_store_dwordx2 v15, v[18:19], s[12:13]
	v_add_u32_e32 v15, 8, v15
	s_andn2_b64 exec, exec, s[18:19]
	s_cbranch_execnz .LBB0_11
; %bb.12:
	s_or_b64 exec, exec, s[18:19]
	v_cmp_ne_u32_e32 vcc, v11, v14
	v_add_u32_e32 v2, v0, v14
	s_orn2_b64 s[18:19], vcc, exec
.LBB0_13:
	s_or_b64 exec, exec, s[16:17]
	s_and_b64 exec, exec, s[18:19]
	s_cbranch_execz .LBB0_16
; %bb.14:
	v_mov_b32_e32 v3, 0
	v_lshlrev_b32_e32 v4, 1, v2
	v_mov_b32_e32 v5, v3
	s_mov_b32 s9, 0
	v_lshl_add_u64 v[4:5], s[14:15], 0, v[4:5]
	v_lshl_add_u64 v[4:5], v[4:5], 0, 1
	s_lshl_b32 s14, s8, 1
	s_mov_b32 s15, s9
	s_mov_b64 s[16:17], 0
.LBB0_15:                               ; =>This Inner Loop Header: Depth=1
	global_load_ushort v6, v[4:5], off offset:-1
	v_lshl_add_u64 v[4:5], v[4:5], 0, s[14:15]
	s_waitcnt vmcnt(0)
	v_lshrrev_b16_e32 v8, 8, v6
	v_bfe_i32 v6, v6, 0, 8
	v_ashrrev_i32_e32 v7, 31, v6
	v_bfe_i32 v8, v8, 0, 8
	v_lshl_add_u64 v[6:7], s[4:5], 0, v[6:7]
	v_ashrrev_i32_e32 v9, 31, v8
	v_lshl_add_u64 v[8:9], s[4:5], 0, v[8:9]
	global_load_ubyte v11, v[6:7], off
	global_load_ubyte v12, v[8:9], off
	v_lshl_add_u64 v[6:7], s[12:13], 0, v[2:3]
	v_lshl_add_u64 v[2:3], v[2:3], 0, s[8:9]
	v_cmp_le_i32_e32 vcc, s11, v2
	s_or_b64 s[16:17], vcc, s[16:17]
	s_waitcnt vmcnt(1)
	v_lshlrev_b16_e32 v8, 4, v11
	s_waitcnt vmcnt(0)
	v_or_b32_e32 v8, v12, v8
	global_store_byte v[6:7], v8, off
	s_andn2_b64 exec, exec, s[16:17]
	s_cbranch_execnz .LBB0_15
.LBB0_16:
	s_or_b64 exec, exec, s[2:3]
	s_lshr_b32 s2, s10, 31
	s_add_i32 s2, s10, s2
	s_ashr_i32 s2, s2, 1
	v_cmp_gt_i32_e32 vcc, s2, v0
	s_and_saveexec_b64 s[8:9], vcc
	s_cbranch_execz .LBB0_24
; %bb.17:
	s_load_dword s3, s[0:1], 0x5c
	s_load_dwordx2 s[14:15], s[0:1], 0x30
	s_load_dwordx2 s[18:19], s[0:1], 0x10
	v_max_i32_e32 v2, s2, v1
	v_sub_u32_e32 v11, v2, v0
	s_waitcnt lgkmcnt(0)
	s_and_b32 s16, s3, 0xffff
	s_cmp_eq_u32 s16, 1
	v_cmp_lt_u32_e32 vcc, 7, v11
	s_cselect_b64 s[20:21], -1, 0
	s_and_b64 s[24:25], vcc, s[20:21]
	s_mov_b64 s[22:23], -1
	s_and_saveexec_b64 s[20:21], s[24:25]
	s_cbranch_execz .LBB0_21
; %bb.18:
	v_add_u32_e32 v7, 7, v0
	v_add_u32_e32 v6, 6, v0
	;; [unrolled: 1-line block ×6, first 2 shown]
	v_and_b32_e32 v14, -8, v11
	v_mov_b64_e32 v[8:9], v[6:7]
	s_mov_b64 s[22:23], 0
	v_mov_b32_e32 v13, 0
	s_mov_b32 s3, 0x5040100
	v_mov_b32_e32 v15, v14
	v_mov_b64_e32 v[6:7], v[4:5]
	v_mov_b64_e32 v[4:5], v[2:3]
	;; [unrolled: 1-line block ×3, first 2 shown]
.LBB0_19:                               ; =>This Inner Loop Header: Depth=1
	v_lshlrev_b32_e32 v26, 1, v4
	v_mov_b32_e32 v27, v13
	v_lshlrev_b32_e32 v16, 1, v9
	v_lshlrev_b32_e32 v18, 1, v8
	;; [unrolled: 1-line block ×7, first 2 shown]
	v_mov_b32_e32 v29, v13
	v_mov_b32_e32 v25, v13
	;; [unrolled: 1-line block ×6, first 2 shown]
	v_lshl_add_u64 v[26:27], s[18:19], 0, v[26:27]
	v_lshl_add_u64 v[30:31], s[18:19], 0, v[12:13]
	;; [unrolled: 1-line block ×8, first 2 shown]
	global_load_ushort v1, v[26:27], off
	global_load_ushort v12, v[24:25], off
	global_load_ushort v32, v[22:23], off
	global_load_ushort v33, v[18:19], off
	global_load_ushort v34, v[16:17], off
	global_load_ushort v35, v[20:21], off
	global_load_ushort v36, v[30:31], off
	global_load_ushort v37, v[28:29], off
	v_add_u32_e32 v15, -8, v15
	v_cmp_eq_u32_e32 vcc, 0, v15
	v_add_u32_e32 v9, 8, v9
	v_add_u32_e32 v8, 8, v8
	;; [unrolled: 1-line block ×8, first 2 shown]
	s_or_b64 s[22:23], vcc, s[22:23]
	s_waitcnt vmcnt(6)
	v_perm_b32 v12, v12, v1, s3
	v_lshrrev_b16_e32 v1, 8, v1
	s_waitcnt vmcnt(5)
	v_lshrrev_b16_e32 v25, 8, v32
	s_waitcnt vmcnt(3)
	v_perm_b32 v17, v34, v33, s3
	s_waitcnt vmcnt(2)
	v_perm_b32 v19, v35, v32, s3
	s_waitcnt vmcnt(1)
	v_lshrrev_b16_e32 v23, 8, v36
	s_waitcnt vmcnt(0)
	v_perm_b32 v21, v37, v36, s3
	v_lshrrev_b16_e32 v24, 8, v33
	v_lshrrev_b32_e32 v27, 16, v17
	v_bfe_i32 v16, v17, 0, 8
	v_lshrrev_b32_e32 v29, 16, v19
	v_lshrrev_b32_e32 v31, 16, v12
	v_bfe_i32 v20, v12, 0, 8
	v_lshrrev_b32_e32 v33, 16, v21
	v_lshrrev_b32_e32 v35, 24, v21
	;; [unrolled: 1-line block ×5, first 2 shown]
	v_bfe_i32 v30, v23, 0, 8
	v_bfe_i32 v18, v19, 0, 8
	v_bfe_i32 v22, v21, 0, 8
	v_bfe_i32 v24, v24, 0, 8
	v_bfe_i32 v26, v25, 0, 8
	v_bfe_i32 v28, v1, 0, 8
	v_bfe_i32 v32, v27, 0, 8
	v_ashrrev_i32_e32 v17, 31, v16
	v_bfe_i32 v34, v29, 0, 8
	v_bfe_i32 v36, v31, 0, 8
	;; [unrolled: 1-line block ×7, first 2 shown]
	v_ashrrev_i32_e32 v31, 31, v30
	v_ashrrev_i32_e32 v19, 31, v18
	;; [unrolled: 1-line block ×11, first 2 shown]
	v_lshl_add_u64 v[16:17], s[4:5], 0, v[16:17]
	v_ashrrev_i32_e32 v41, 31, v40
	v_ashrrev_i32_e32 v43, 31, v42
	;; [unrolled: 1-line block ×4, first 2 shown]
	v_lshl_add_u64 v[30:31], s[4:5], 0, v[30:31]
	v_lshl_add_u64 v[22:23], s[4:5], 0, v[22:23]
	;; [unrolled: 1-line block ×15, first 2 shown]
	global_load_ubyte v1, v[30:31], off
	global_load_ubyte v12, v[22:23], off
	global_load_ubyte v48, v[20:21], off
	global_load_ubyte v49, v[16:17], off
	global_load_ubyte v50, v[18:19], off
	global_load_ubyte v51, v[42:43], off
	global_load_ubyte v52, v[34:35], off
	global_load_ubyte v53, v[40:41], off
	global_load_ubyte v54, v[32:33], off
	global_load_ubyte v55, v[46:47], off
	global_load_ubyte v56, v[38:39], off
	global_load_ubyte v57, v[44:45], off
	global_load_ubyte v58, v[36:37], off
	global_load_ubyte v59, v[26:27], off
	global_load_ubyte v60, v[24:25], off
                                        ; kill: killed $vgpr36_vgpr37
                                        ; kill: killed $vgpr40_vgpr41
                                        ; kill: killed $vgpr30_vgpr31
                                        ; kill: killed $vgpr38_vgpr39
                                        ; kill: killed $vgpr42_vgpr43
                                        ; kill: killed $vgpr16_vgpr17
                                        ; kill: killed $vgpr44_vgpr45
                                        ; kill: killed $vgpr18_vgpr19
                                        ; kill: killed $vgpr46_vgpr47
                                        ; kill: killed $vgpr20_vgpr21
                                        ; kill: killed $vgpr24_vgpr25
                                        ; kill: killed $vgpr32_vgpr33
                                        ; kill: killed $vgpr22_vgpr23
                                        ; kill: killed $vgpr26_vgpr27
                                        ; kill: killed $vgpr34_vgpr35
	global_load_ubyte v16, v[28:29], off
	s_waitcnt vmcnt(14)
	v_lshlrev_b16_e32 v12, 4, v12
	s_waitcnt vmcnt(13)
	v_lshlrev_b16_e32 v17, 4, v48
	;; [unrolled: 2-line block ×3, first 2 shown]
	v_and_b32_e32 v12, 0xf0, v12
	s_waitcnt vmcnt(10)
	v_lshlrev_b16_e32 v20, 8, v51
	s_waitcnt vmcnt(9)
	v_lshlrev_b16_e32 v21, 12, v52
	;; [unrolled: 2-line block ×8, first 2 shown]
	v_lshlrev_b16_e32 v19, 4, v50
	v_and_b32_e32 v17, 0xf0, v17
	v_and_b32_e32 v18, 0xf0, v18
	v_or_b32_e32 v20, v21, v20
	v_or_b32_e32 v21, v23, v22
	;; [unrolled: 1-line block ×4, first 2 shown]
	v_and_b32_e32 v19, 0xf0, v19
	s_waitcnt vmcnt(1)
	v_bitop3_b16 v18, v60, v21, v18 bitop3:0xfe
	v_bitop3_b16 v1, v1, v22, v12 bitop3:0xfe
	;; [unrolled: 1-line block ×3, first 2 shown]
	s_waitcnt vmcnt(0)
	v_bitop3_b16 v12, v16, v23, v17 bitop3:0xfe
	v_lshlrev_b32_e32 v16, 16, v18
	v_lshlrev_b32_e32 v12, 16, v12
	v_or_b32_sdwa v17, v19, v16 dst_sel:DWORD dst_unused:UNUSED_PAD src0_sel:WORD_0 src1_sel:DWORD
	v_or_b32_sdwa v16, v1, v12 dst_sel:DWORD dst_unused:UNUSED_PAD src0_sel:WORD_0 src1_sel:DWORD
	global_store_dwordx2 v10, v[16:17], s[14:15]
	v_add_u32_e32 v10, 8, v10
	s_andn2_b64 exec, exec, s[22:23]
	s_cbranch_execnz .LBB0_19
; %bb.20:
	s_or_b64 exec, exec, s[22:23]
	v_cmp_ne_u32_e32 vcc, v11, v14
	v_add_u32_e32 v10, v0, v14
	s_orn2_b64 s[22:23], vcc, exec
.LBB0_21:
	s_or_b64 exec, exec, s[20:21]
	s_and_b64 exec, exec, s[22:23]
	s_cbranch_execz .LBB0_24
; %bb.22:
	v_mov_b32_e32 v11, 0
	v_lshlrev_b32_e32 v2, 1, v10
	v_mov_b32_e32 v3, v11
	s_mov_b32 s17, 0
	v_lshl_add_u64 v[2:3], s[18:19], 0, v[2:3]
	v_lshl_add_u64 v[2:3], v[2:3], 0, 1
	s_lshl_b32 s18, s16, 1
	s_mov_b32 s19, s17
	s_mov_b64 s[20:21], 0
.LBB0_23:                               ; =>This Inner Loop Header: Depth=1
	global_load_ushort v1, v[2:3], off offset:-1
	v_lshl_add_u64 v[2:3], v[2:3], 0, s[18:19]
	s_waitcnt vmcnt(0)
	v_lshrrev_b16_e32 v6, 8, v1
	v_bfe_i32 v4, v1, 0, 8
	v_ashrrev_i32_e32 v5, 31, v4
	v_bfe_i32 v6, v6, 0, 8
	v_lshl_add_u64 v[4:5], s[4:5], 0, v[4:5]
	v_ashrrev_i32_e32 v7, 31, v6
	v_lshl_add_u64 v[6:7], s[4:5], 0, v[6:7]
	global_load_ubyte v1, v[4:5], off
	global_load_ubyte v8, v[6:7], off
	v_lshl_add_u64 v[4:5], s[14:15], 0, v[10:11]
	v_lshl_add_u64 v[10:11], v[10:11], 0, s[16:17]
	v_cmp_le_i32_e32 vcc, s2, v10
	s_or_b64 s[20:21], vcc, s[20:21]
	s_waitcnt vmcnt(1)
	v_lshlrev_b16_e32 v1, 4, v1
	s_waitcnt vmcnt(0)
	v_or_b32_e32 v1, v8, v1
	global_store_byte v[4:5], v1, off
	s_andn2_b64 exec, exec, s[20:21]
	s_cbranch_execnz .LBB0_23
.LBB0_24:
	s_or_b64 exec, exec, s[8:9]
	v_cmp_eq_u32_e32 vcc, 0, v0
	s_and_saveexec_b64 s[4:5], vcc
	s_cbranch_execz .LBB0_32
; %bb.25:
	s_add_i32 s3, s10, 1
	s_mov_b32 s8, 0
	v_mov_b32_e32 v10, 64
	v_mov_b32_e32 v11, 0
	s_cmp_lt_u32 s3, 3
	scratch_store_dwordx2 off, v[10:11], off offset:128
	s_cbranch_scc1 .LBB0_32
; %bb.26:
	global_load_dwordx4 v[0:3], v11, s[6:7]
	global_load_dwordx2 v[12:13], v11, s[12:13]
	global_load_dwordx4 v[4:7], v11, s[6:7] offset:16
	s_load_dwordx2 s[0:1], s[0:1], 0x38
	s_ashr_i32 s3, s2, 31
	s_mov_b64 s[4:5], 64
	s_mov_b32 s9, 0
	v_mov_b32_e32 v24, 0
	s_waitcnt vmcnt(2)
	v_add_u32_e32 v8, 0x6b206574, v3
	v_add_u32_e32 v9, 0x79622d32, v2
	s_waitcnt vmcnt(1)
	v_xor_b32_e32 v10, v13, v8
	v_xor_b32_e32 v16, v12, v9
	v_alignbit_b32 v10, v10, v10, 16
	v_alignbit_b32 v17, v16, v16, 16
	s_waitcnt vmcnt(0)
	v_add_u32_e32 v19, v10, v7
	v_add_u32_e32 v20, v17, v6
	v_xor_b32_e32 v16, v19, v3
	v_xor_b32_e32 v18, v20, v2
	v_alignbit_b32 v21, v16, v16, 20
	v_alignbit_b32 v22, v18, v18, 20
	v_add_u32_e32 v16, v21, v8
	v_add_u32_e32 v8, v22, v9
	v_xor_b32_e32 v9, v16, v10
	v_xor_b32_e32 v10, v8, v17
	v_alignbit_b32 v17, v9, v9, 24
	v_alignbit_b32 v18, v10, v10, 24
	v_add_u32_e32 v19, v17, v19
	v_add_u32_e32 v20, v18, v20
	v_xor_b32_e32 v9, v19, v21
	v_xor_b32_e32 v10, v20, v22
	v_alignbit_b32 v21, v9, v9, 25
	v_add_u32_e32 v14, 0x3320646e, v1
	v_add_u32_e32 v15, 0x61707865, v0
	v_alignbit_b32 v22, v10, v10, 25
	v_add_u32_e32 v23, v21, v8
	s_branch .LBB0_28
.LBB0_27:                               ;   in Loop: Header=BB0_28 Depth=1
	s_waitcnt lgkmcnt(0)
	global_load_ubyte v9, v11, s[0:1]
	v_mov_b64_e32 v[26:27], s[4:5]
	scratch_store_dwordx2 off, v[26:27], off offset:128
	s_waitcnt vmcnt(1)
	v_xor_b32_e32 v8, v9, v8
	global_store_byte v11, v8, s[0:1]
	s_add_u32 s0, s0, 1
	s_addc_u32 s1, s1, 0
	s_add_u32 s2, s2, -1
	s_addc_u32 s3, s3, -1
	s_cmp_lg_u64 s[2:3], 0
	s_cbranch_scc0 .LBB0_32
.LBB0_28:                               ; =>This Inner Loop Header: Depth=1
	v_cmp_gt_u64_e64 s[6:7], s[4:5], 63
	s_and_b64 vcc, exec, s[6:7]
	s_mov_b64 s[6:7], -1
                                        ; implicit-def: $vgpr8
	s_cbranch_vccnz .LBB0_30
; %bb.29:                               ;   in Loop: Header=BB0_28 Depth=1
	scratch_load_ubyte v8, off, s4 offset:64
	s_add_u32 s4, s4, 1
	s_addc_u32 s5, s5, 0
	s_mov_b64 s[6:7], 0
.LBB0_30:                               ;   in Loop: Header=BB0_28 Depth=1
	s_andn2_b64 vcc, exec, s[6:7]
	s_cbranch_vccnz .LBB0_27
; %bb.31:                               ;   in Loop: Header=BB0_28 Depth=1
	s_waitcnt vmcnt(0)
	v_xor_b32_e32 v8, s9, v14
	v_alignbit_b32 v8, v8, v8, 16
	v_xor_b32_e32 v28, v24, v15
	v_add_u32_e32 v9, v8, v5
	v_alignbit_b32 v28, v28, v28, 16
	v_xor_b32_e32 v10, v9, v1
	v_add_u32_e32 v29, v28, v4
	;; [unrolled: 3-line block ×4, first 2 shown]
	v_alignbit_b32 v8, v8, v8, 24
	v_xor_b32_e32 v28, v31, v28
	v_xor_b32_e32 v27, v8, v23
	v_alignbit_b32 v28, v28, v28, 24
	v_alignbit_b32 v27, v27, v27, 16
	v_add_u32_e32 v29, v28, v29
	v_add_u32_e32 v32, v27, v29
	v_xor_b32_e32 v29, v29, v30
	v_alignbit_b32 v29, v29, v29, 25
	v_add_u32_e32 v30, v29, v16
	v_xor_b32_e32 v35, v30, v18
	v_alignbit_b32 v35, v35, v35, 16
	v_add_u32_e32 v8, v8, v9
	v_add_u32_e32 v9, v35, v8
	v_xor_b32_e32 v8, v8, v10
	v_alignbit_b32 v8, v8, v8, 25
	v_xor_b32_e32 v33, v32, v21
	v_add_u32_e32 v10, v8, v31
	v_alignbit_b32 v33, v33, v33, 20
	v_xor_b32_e32 v31, v10, v17
	v_add_u32_e32 v34, v33, v23
	v_alignbit_b32 v31, v31, v31, 16
	v_add_u32_e32 v26, v26, v22
	v_xor_b32_e32 v27, v34, v27
	v_add_u32_e32 v37, v31, v20
	v_xor_b32_e32 v28, v28, v26
	v_alignbit_b32 v27, v27, v27, 24
	v_xor_b32_e32 v8, v37, v8
	v_alignbit_b32 v28, v28, v28, 16
	v_add_u32_e32 v32, v27, v32
	v_xor_b32_e32 v29, v9, v29
	v_alignbit_b32 v8, v8, v8, 20
	v_add_u32_e32 v39, v28, v19
	v_xor_b32_e32 v33, v32, v33
	v_alignbit_b32 v29, v29, v29, 20
	v_add_u32_e32 v10, v8, v10
	v_xor_b32_e32 v40, v39, v22
	v_alignbit_b32 v33, v33, v33, 25
	v_add_u32_e32 v30, v29, v30
	v_xor_b32_e32 v31, v10, v31
	v_alignbit_b32 v40, v40, v40, 20
	v_add_u32_e32 v36, v33, v30
	v_alignbit_b32 v31, v31, v31, 24
	v_add_u32_e32 v26, v40, v26
	v_xor_b32_e32 v38, v36, v31
	v_xor_b32_e32 v28, v26, v28
	v_add_u32_e32 v31, v31, v37
	v_alignbit_b32 v28, v28, v28, 24
	v_xor_b32_e32 v8, v31, v8
	v_alignbit_b32 v38, v38, v38, 16
	v_add_u32_e32 v39, v28, v39
	v_alignbit_b32 v8, v8, v8, 25
	v_add_u32_e32 v41, v38, v39
	v_xor_b32_e32 v39, v39, v40
	v_xor_b32_e32 v30, v30, v35
	v_add_u32_e32 v26, v8, v26
	v_alignbit_b32 v39, v39, v39, 25
	v_alignbit_b32 v30, v30, v30, 24
	v_xor_b32_e32 v27, v26, v27
	v_add_u32_e32 v34, v39, v34
	v_alignbit_b32 v27, v27, v27, 16
	v_add_u32_e32 v9, v30, v9
	v_xor_b32_e32 v35, v34, v30
	v_add_u32_e32 v30, v27, v9
	v_xor_b32_e32 v9, v9, v29
	v_alignbit_b32 v9, v9, v9, 25
	v_add_u32_e32 v10, v9, v10
	v_xor_b32_e32 v33, v41, v33
	v_xor_b32_e32 v28, v10, v28
	v_alignbit_b32 v33, v33, v33, 20
	v_alignbit_b32 v28, v28, v28, 16
	v_add_u32_e32 v36, v33, v36
	v_add_u32_e32 v29, v28, v32
	v_xor_b32_e32 v38, v36, v38
	v_alignbit_b32 v35, v35, v35, 16
	v_xor_b32_e32 v9, v29, v9
	v_alignbit_b32 v38, v38, v38, 24
	v_add_u32_e32 v37, v35, v31
	v_xor_b32_e32 v8, v30, v8
	v_alignbit_b32 v9, v9, v9, 20
	v_add_u32_e32 v41, v38, v41
	;; [unrolled: 3-line block ×6, first 2 shown]
	v_alignbit_b32 v27, v27, v27, 24
	v_add_u32_e32 v29, v28, v29
	v_xor_b32_e32 v31, v40, v27
	v_xor_b32_e32 v9, v29, v9
	v_alignbit_b32 v31, v31, v31, 16
	v_alignbit_b32 v9, v9, v9, 25
	v_xor_b32_e32 v34, v34, v35
	v_add_u32_e32 v27, v27, v30
	v_add_u32_e32 v32, v31, v29
	;; [unrolled: 1-line block ×3, first 2 shown]
	v_alignbit_b32 v34, v34, v34, 24
	v_xor_b32_e32 v8, v27, v8
	v_xor_b32_e32 v35, v29, v34
	v_alignbit_b32 v8, v8, v8, 25
	v_alignbit_b32 v35, v35, v35, 16
	v_add_u32_e32 v10, v8, v10
	v_add_u32_e32 v30, v35, v27
	v_xor_b32_e32 v27, v10, v38
	v_alignbit_b32 v27, v27, v27, 16
	v_add_u32_e32 v34, v34, v37
	v_add_u32_e32 v37, v27, v34
	v_xor_b32_e32 v34, v34, v39
	v_alignbit_b32 v34, v34, v34, 25
	v_add_u32_e32 v26, v34, v26
	v_xor_b32_e32 v33, v32, v33
	v_xor_b32_e32 v28, v26, v28
	v_alignbit_b32 v33, v33, v33, 20
	v_alignbit_b32 v28, v28, v28, 16
	v_add_u32_e32 v40, v33, v40
	v_add_u32_e32 v39, v28, v41
	v_xor_b32_e32 v31, v40, v31
	v_xor_b32_e32 v34, v39, v34
	v_alignbit_b32 v31, v31, v31, 24
	v_xor_b32_e32 v8, v37, v8
	v_alignbit_b32 v34, v34, v34, 20
	v_add_u32_e32 v32, v31, v32
	v_xor_b32_e32 v9, v30, v9
	v_alignbit_b32 v8, v8, v8, 20
	v_add_u32_e32 v26, v34, v26
	v_xor_b32_e32 v33, v32, v33
	v_alignbit_b32 v9, v9, v9, 20
	v_add_u32_e32 v10, v8, v10
	v_xor_b32_e32 v28, v26, v28
	v_alignbit_b32 v33, v33, v33, 25
	v_add_u32_e32 v29, v9, v29
	v_xor_b32_e32 v27, v10, v27
	v_alignbit_b32 v28, v28, v28, 24
	v_add_u32_e32 v36, v33, v29
	v_alignbit_b32 v27, v27, v27, 24
	v_add_u32_e32 v39, v28, v39
	v_xor_b32_e32 v38, v36, v27
	v_xor_b32_e32 v34, v39, v34
	v_alignbit_b32 v38, v38, v38, 16
	v_alignbit_b32 v34, v34, v34, 25
	v_xor_b32_e32 v29, v29, v35
	v_add_u32_e32 v41, v38, v39
	v_add_u32_e32 v39, v34, v40
	v_alignbit_b32 v29, v29, v29, 24
	v_xor_b32_e32 v35, v39, v29
	v_add_u32_e32 v27, v27, v37
	v_add_u32_e32 v29, v29, v30
	v_xor_b32_e32 v8, v27, v8
	v_xor_b32_e32 v9, v29, v9
	v_alignbit_b32 v8, v8, v8, 25
	v_alignbit_b32 v9, v9, v9, 25
	v_alignbit_b32 v35, v35, v35, 16
	v_add_u32_e32 v26, v8, v26
	v_add_u32_e32 v10, v9, v10
	v_xor_b32_e32 v33, v41, v33
	v_add_u32_e32 v37, v35, v27
	v_xor_b32_e32 v27, v26, v31
	v_xor_b32_e32 v28, v10, v28
	v_alignbit_b32 v33, v33, v33, 20
	v_alignbit_b32 v27, v27, v27, 16
	v_alignbit_b32 v28, v28, v28, 16
	v_add_u32_e32 v36, v33, v36
	v_add_u32_e32 v30, v27, v29
	v_add_u32_e32 v29, v28, v32
	v_xor_b32_e32 v38, v36, v38
	v_xor_b32_e32 v9, v29, v9
	v_alignbit_b32 v38, v38, v38, 24
	v_xor_b32_e32 v8, v30, v8
	v_alignbit_b32 v9, v9, v9, 20
	v_add_u32_e32 v41, v38, v41
	v_xor_b32_e32 v34, v37, v34
	v_alignbit_b32 v8, v8, v8, 20
	v_add_u32_e32 v10, v9, v10
	v_xor_b32_e32 v33, v41, v33
	v_alignbit_b32 v34, v34, v34, 20
	v_add_u32_e32 v26, v8, v26
	v_xor_b32_e32 v28, v10, v28
	v_alignbit_b32 v33, v33, v33, 25
	v_add_u32_e32 v39, v34, v39
	v_xor_b32_e32 v27, v26, v27
	v_alignbit_b32 v28, v28, v28, 24
	v_add_u32_e32 v40, v33, v39
	v_alignbit_b32 v27, v27, v27, 24
	v_add_u32_e32 v29, v28, v29
	v_xor_b32_e32 v31, v40, v27
	v_xor_b32_e32 v9, v29, v9
	v_alignbit_b32 v31, v31, v31, 16
	v_alignbit_b32 v9, v9, v9, 25
	v_xor_b32_e32 v35, v39, v35
	v_add_u32_e32 v32, v31, v29
	v_add_u32_e32 v29, v9, v36
	v_alignbit_b32 v35, v35, v35, 24
	v_xor_b32_e32 v36, v29, v35
	v_add_u32_e32 v27, v27, v30
	v_add_u32_e32 v35, v35, v37
	v_xor_b32_e32 v8, v27, v8
	v_xor_b32_e32 v34, v35, v34
	v_alignbit_b32 v8, v8, v8, 25
	v_alignbit_b32 v34, v34, v34, 25
	v_alignbit_b32 v36, v36, v36, 16
	v_add_u32_e32 v10, v8, v10
	v_add_u32_e32 v26, v34, v26
	v_xor_b32_e32 v33, v32, v33
	v_add_u32_e32 v30, v36, v27
	v_xor_b32_e32 v27, v10, v38
	v_xor_b32_e32 v28, v26, v28
	v_alignbit_b32 v33, v33, v33, 20
	v_alignbit_b32 v27, v27, v27, 16
	v_alignbit_b32 v28, v28, v28, 16
	v_add_u32_e32 v40, v33, v40
	;; [unrolled: 48-line block ×13, first 2 shown]
	v_add_u32_e32 v30, v27, v29
	v_add_u32_e32 v29, v28, v32
	v_xor_b32_e32 v38, v39, v38
	v_xor_b32_e32 v9, v29, v9
	v_alignbit_b32 v38, v38, v38, 24
	v_xor_b32_e32 v8, v30, v8
	v_alignbit_b32 v9, v9, v9, 20
	v_add_u32_e32 v41, v38, v41
	v_xor_b32_e32 v34, v37, v34
	v_alignbit_b32 v8, v8, v8, 20
	v_add_u32_e32 v10, v9, v10
	;; [unrolled: 3-line block ×5, first 2 shown]
	v_alignbit_b32 v27, v27, v27, 24
	v_add_u32_e32 v29, v28, v29
	v_xor_b32_e32 v31, v40, v27
	v_xor_b32_e32 v9, v29, v9
	v_alignbit_b32 v31, v31, v31, 16
	v_alignbit_b32 v9, v9, v9, 25
	v_xor_b32_e32 v35, v35, v36
	v_add_u32_e32 v27, v27, v30
	v_add_u32_e32 v32, v31, v29
	;; [unrolled: 1-line block ×3, first 2 shown]
	v_alignbit_b32 v35, v35, v35, 24
	v_xor_b32_e32 v8, v27, v8
	v_xor_b32_e32 v36, v29, v35
	v_alignbit_b32 v8, v8, v8, 25
	v_xor_b32_e32 v33, v32, v33
	v_alignbit_b32 v36, v36, v36, 16
	v_add_u32_e32 v10, v8, v10
	v_alignbit_b32 v33, v33, v33, 20
	v_add_u32_e32 v30, v36, v27
	v_xor_b32_e32 v27, v10, v38
	v_add_u32_e32 v40, v33, v40
	v_alignbit_b32 v27, v27, v27, 16
	v_add_u32_e32 v35, v35, v37
	v_xor_b32_e32 v31, v40, v31
	v_add_u32_e32 v37, v27, v35
	v_xor_b32_e32 v34, v35, v34
	v_alignbit_b32 v31, v31, v31, 24
	v_xor_b32_e32 v8, v37, v8
	v_alignbit_b32 v34, v34, v34, 25
	v_add_u32_e32 v32, v31, v32
	v_xor_b32_e32 v9, v30, v9
	v_alignbit_b32 v8, v8, v8, 20
	v_add_u32_e32 v26, v34, v26
	;; [unrolled: 3-line block ×5, first 2 shown]
	v_alignbit_b32 v27, v27, v27, 24
	v_add_u32_e32 v35, v28, v41
	v_xor_b32_e32 v38, v39, v27
	v_xor_b32_e32 v34, v35, v34
	v_add_u32_e32 v27, v27, v37
	v_alignbit_b32 v34, v34, v34, 20
	v_xor_b32_e32 v8, v27, v8
	v_add_u32_e32 v26, v34, v26
	v_alignbit_b32 v8, v8, v8, 25
	v_xor_b32_e32 v28, v26, v28
	v_add_u32_e32 v26, v8, v26
	v_xor_b32_e32 v29, v29, v36
	v_alignbit_b32 v28, v28, v28, 24
	v_xor_b32_e32 v31, v26, v31
	v_alignbit_b32 v29, v29, v29, 24
	v_add_u32_e32 v35, v28, v35
	v_alignbit_b32 v31, v31, v31, 16
	v_add_u32_e32 v30, v29, v30
	v_add_u32_e32 v36, v31, v30
	v_xor_b32_e32 v9, v30, v9
	v_xor_b32_e32 v34, v35, v34
	v_alignbit_b32 v38, v38, v38, 16
	v_xor_b32_e32 v8, v36, v8
	v_alignbit_b32 v9, v9, v9, 25
	v_alignbit_b32 v34, v34, v34, 25
	v_add_u32_e32 v41, v38, v35
	v_alignbit_b32 v8, v8, v8, 20
	v_add_u32_e32 v10, v9, v10
	v_add_u32_e32 v35, v34, v40
	;; [unrolled: 1-line block ×3, first 2 shown]
	v_xor_b32_e32 v28, v10, v28
	v_xor_b32_e32 v29, v35, v29
	v_xor_b32_e32 v31, v26, v31
	v_alignbit_b32 v28, v28, v28, 16
	v_alignbit_b32 v29, v29, v29, 16
	v_xor_b32_e32 v33, v41, v33
	v_alignbit_b32 v31, v31, v31, 24
	v_add_u32_e32 v30, v28, v32
	v_add_u32_e32 v27, v29, v27
	v_alignbit_b32 v33, v33, v33, 20
	v_add_u32_e32 v36, v31, v36
	v_xor_b32_e32 v9, v30, v9
	v_xor_b32_e32 v34, v27, v34
	v_add_u32_e32 v39, v33, v39
	v_xor_b32_e32 v8, v36, v8
	v_alignbit_b32 v9, v9, v9, 20
	v_alignbit_b32 v34, v34, v34, 20
	v_xor_b32_e32 v38, v39, v38
	v_alignbit_b32 v8, v8, v8, 25
	v_add_u32_e32 v10, v9, v10
	v_add_u32_e32 v35, v34, v35
	v_alignbit_b32 v38, v38, v38, 24
	v_add_u32_e32 v32, v8, v10
	v_xor_b32_e32 v29, v35, v29
	v_xor_b32_e32 v37, v32, v38
	v_alignbit_b32 v29, v29, v29, 24
	v_xor_b32_e32 v10, v10, v28
	v_add_u32_e32 v38, v38, v41
	v_alignbit_b32 v37, v37, v37, 16
	v_add_u32_e32 v27, v29, v27
	v_alignbit_b32 v10, v10, v10, 24
	v_xor_b32_e32 v33, v38, v33
	v_add_u32_e32 v40, v37, v27
	v_add_u32_e32 v28, v10, v30
	v_alignbit_b32 v33, v33, v33, 25
	v_xor_b32_e32 v27, v27, v34
	v_xor_b32_e32 v9, v28, v9
	v_add_u32_e32 v35, v33, v35
	v_alignbit_b32 v27, v27, v27, 25
	v_alignbit_b32 v9, v9, v9, 25
	v_xor_b32_e32 v31, v35, v31
	v_add_u32_e32 v26, v27, v26
	v_add_u32_e32 v30, v9, v39
	v_alignbit_b32 v31, v31, v31, 16
	v_xor_b32_e32 v10, v26, v10
	v_xor_b32_e32 v29, v30, v29
	v_add_u32_e32 v39, v31, v28
	v_alignbit_b32 v10, v10, v10, 16
	v_xor_b32_e32 v8, v40, v8
	v_alignbit_b32 v29, v29, v29, 16
	v_xor_b32_e32 v28, v39, v33
	v_add_u32_e32 v33, v10, v38
	v_alignbit_b32 v8, v8, v8, 20
	v_add_u32_e32 v36, v29, v36
	v_xor_b32_e32 v27, v33, v27
	v_add_u32_e32 v42, v8, v32
	v_xor_b32_e32 v9, v36, v9
	v_alignbit_b32 v41, v28, v28, 20
	v_alignbit_b32 v27, v27, v27, 20
	v_xor_b32_e32 v32, v42, v37
	v_alignbit_b32 v9, v9, v9, 20
	v_add_u32_e32 v35, v41, v35
	v_add_u32_e32 v26, v27, v26
	v_alignbit_b32 v32, v32, v32, 24
	v_add_u32_e32 v30, v9, v30
	v_xor_b32_e32 v28, v35, v31
	v_xor_b32_e32 v10, v26, v10
	;; [unrolled: 1-line block ×3, first 2 shown]
	v_alignbit_b32 v31, v28, v28, 24
	v_alignbit_b32 v38, v10, v10, 24
	v_add_u32_e32 v10, v32, v40
	v_alignbit_b32 v37, v29, v29, 24
	v_add_u32_e32 v28, s9, v31
	v_add_u32_e32 v44, v38, v33
	;; [unrolled: 1-line block ×3, first 2 shown]
	v_xor_b32_e32 v8, v10, v8
	v_add_co_u32_e32 v25, vcc, 1, v24
	s_add_i32 s6, s9, 1
	v_add_u32_e32 v34, v37, v36
	v_xor_b32_e32 v36, v31, v41
	v_xor_b32_e32 v27, v44, v27
	v_alignbit_b32 v8, v8, v8, 25
	s_and_b64 s[4:5], vcc, exec
	v_alignbit_b32 v39, v36, v36, 25
	v_alignbit_b32 v27, v27, v27, 25
	v_add_u32_e32 v36, v8, v1
	v_xor_b32_e32 v8, v34, v9
	s_cselect_b32 s8, s6, s8
	s_cselect_b32 s6, s6, s9
	v_add_u32_e32 v29, v37, v12
	v_add_u32_e32 v37, v27, v2
	v_alignbit_b32 v27, v8, v8, 25
	v_add_u32_e32 v43, v32, v13
	v_add_u32_e32 v33, v10, v6
	;; [unrolled: 1-line block ×12, first 2 shown]
	s_mov_b64 s[4:5], 1
	s_mov_b32 s9, s6
	v_mov_b32_e32 v24, v25
	scratch_store_dwordx3 off, v[8:10], off offset:64
	scratch_store_dwordx4 off, v[34:37], off offset:76
	scratch_store_dwordx4 off, v[30:33], off offset:92
	;; [unrolled: 1-line block ×3, first 2 shown]
	scratch_store_dword off, v43, off offset:124
	s_branch .LBB0_27
.LBB0_32:
	s_endpgm
	.section	.rodata,"a",@progbits
	.p2align	6, 0x0
	.amdhsa_kernel _Z15test_keystreamsPKcS0_S0_PKhPhS3_S3_S3_iii
		.amdhsa_group_segment_fixed_size 0
		.amdhsa_private_segment_fixed_size 144
		.amdhsa_kernarg_size 336
		.amdhsa_user_sgpr_count 2
		.amdhsa_user_sgpr_dispatch_ptr 0
		.amdhsa_user_sgpr_queue_ptr 0
		.amdhsa_user_sgpr_kernarg_segment_ptr 1
		.amdhsa_user_sgpr_dispatch_id 0
		.amdhsa_user_sgpr_kernarg_preload_length 0
		.amdhsa_user_sgpr_kernarg_preload_offset 0
		.amdhsa_user_sgpr_private_segment_size 0
		.amdhsa_uses_dynamic_stack 0
		.amdhsa_enable_private_segment 1
		.amdhsa_system_sgpr_workgroup_id_x 1
		.amdhsa_system_sgpr_workgroup_id_y 0
		.amdhsa_system_sgpr_workgroup_id_z 0
		.amdhsa_system_sgpr_workgroup_info 0
		.amdhsa_system_vgpr_workitem_id 0
		.amdhsa_next_free_vgpr 63
		.amdhsa_next_free_sgpr 26
		.amdhsa_accum_offset 64
		.amdhsa_reserve_vcc 1
		.amdhsa_float_round_mode_32 0
		.amdhsa_float_round_mode_16_64 0
		.amdhsa_float_denorm_mode_32 3
		.amdhsa_float_denorm_mode_16_64 3
		.amdhsa_dx10_clamp 1
		.amdhsa_ieee_mode 1
		.amdhsa_fp16_overflow 0
		.amdhsa_tg_split 0
		.amdhsa_exception_fp_ieee_invalid_op 0
		.amdhsa_exception_fp_denorm_src 0
		.amdhsa_exception_fp_ieee_div_zero 0
		.amdhsa_exception_fp_ieee_overflow 0
		.amdhsa_exception_fp_ieee_underflow 0
		.amdhsa_exception_fp_ieee_inexact 0
		.amdhsa_exception_int_div_zero 0
	.end_amdhsa_kernel
	.text
.Lfunc_end0:
	.size	_Z15test_keystreamsPKcS0_S0_PKhPhS3_S3_S3_iii, .Lfunc_end0-_Z15test_keystreamsPKcS0_S0_PKhPhS3_S3_S3_iii
                                        ; -- End function
	.set _Z15test_keystreamsPKcS0_S0_PKhPhS3_S3_S3_iii.num_vgpr, 63
	.set _Z15test_keystreamsPKcS0_S0_PKhPhS3_S3_S3_iii.num_agpr, 0
	.set _Z15test_keystreamsPKcS0_S0_PKhPhS3_S3_S3_iii.numbered_sgpr, 26
	.set _Z15test_keystreamsPKcS0_S0_PKhPhS3_S3_S3_iii.num_named_barrier, 0
	.set _Z15test_keystreamsPKcS0_S0_PKhPhS3_S3_S3_iii.private_seg_size, 144
	.set _Z15test_keystreamsPKcS0_S0_PKhPhS3_S3_S3_iii.uses_vcc, 1
	.set _Z15test_keystreamsPKcS0_S0_PKhPhS3_S3_S3_iii.uses_flat_scratch, 0
	.set _Z15test_keystreamsPKcS0_S0_PKhPhS3_S3_S3_iii.has_dyn_sized_stack, 0
	.set _Z15test_keystreamsPKcS0_S0_PKhPhS3_S3_S3_iii.has_recursion, 0
	.set _Z15test_keystreamsPKcS0_S0_PKhPhS3_S3_S3_iii.has_indirect_call, 0
	.section	.AMDGPU.csdata,"",@progbits
; Kernel info:
; codeLenInByte = 9696
; TotalNumSgprs: 32
; NumVgprs: 63
; NumAgprs: 0
; TotalNumVgprs: 63
; ScratchSize: 144
; MemoryBound: 0
; FloatMode: 240
; IeeeMode: 1
; LDSByteSize: 0 bytes/workgroup (compile time only)
; SGPRBlocks: 3
; VGPRBlocks: 7
; NumSGPRsForWavesPerEU: 32
; NumVGPRsForWavesPerEU: 63
; AccumOffset: 64
; Occupancy: 8
; WaveLimiterHint : 1
; COMPUTE_PGM_RSRC2:SCRATCH_EN: 1
; COMPUTE_PGM_RSRC2:USER_SGPR: 2
; COMPUTE_PGM_RSRC2:TRAP_HANDLER: 0
; COMPUTE_PGM_RSRC2:TGID_X_EN: 1
; COMPUTE_PGM_RSRC2:TGID_Y_EN: 0
; COMPUTE_PGM_RSRC2:TGID_Z_EN: 0
; COMPUTE_PGM_RSRC2:TIDIG_COMP_CNT: 0
; COMPUTE_PGM_RSRC3_GFX90A:ACCUM_OFFSET: 15
; COMPUTE_PGM_RSRC3_GFX90A:TG_SPLIT: 0
	.text
	.p2alignl 6, 3212836864
	.fill 256, 4, 3212836864
	.section	.AMDGPU.gpr_maximums,"",@progbits
	.set amdgpu.max_num_vgpr, 0
	.set amdgpu.max_num_agpr, 0
	.set amdgpu.max_num_sgpr, 0
	.text
	.type	__hip_cuid_f60373ebbc2dae2e,@object ; @__hip_cuid_f60373ebbc2dae2e
	.section	.bss,"aw",@nobits
	.globl	__hip_cuid_f60373ebbc2dae2e
__hip_cuid_f60373ebbc2dae2e:
	.byte	0                               ; 0x0
	.size	__hip_cuid_f60373ebbc2dae2e, 1

	.ident	"AMD clang version 22.0.0git (https://github.com/RadeonOpenCompute/llvm-project roc-7.2.4 26084 f58b06dce1f9c15707c5f808fd002e18c2accf7e)"
	.section	".note.GNU-stack","",@progbits
	.addrsig
	.addrsig_sym __hip_cuid_f60373ebbc2dae2e
	.amdgpu_metadata
---
amdhsa.kernels:
  - .agpr_count:     0
    .args:
      - .actual_access:  read_only
        .address_space:  global
        .offset:         0
        .size:           8
        .value_kind:     global_buffer
      - .actual_access:  read_only
        .address_space:  global
        .offset:         8
        .size:           8
        .value_kind:     global_buffer
      - .actual_access:  read_only
        .address_space:  global
        .offset:         16
        .size:           8
        .value_kind:     global_buffer
      - .actual_access:  read_only
        .address_space:  global
        .offset:         24
        .size:           8
        .value_kind:     global_buffer
      - .address_space:  global
        .offset:         32
        .size:           8
        .value_kind:     global_buffer
      - .address_space:  global
        .offset:         40
        .size:           8
        .value_kind:     global_buffer
      - .actual_access:  write_only
        .address_space:  global
        .offset:         48
        .size:           8
        .value_kind:     global_buffer
      - .address_space:  global
        .offset:         56
        .size:           8
        .value_kind:     global_buffer
      - .offset:         64
        .size:           4
        .value_kind:     by_value
      - .offset:         68
        .size:           4
        .value_kind:     by_value
      - .offset:         72
        .size:           4
        .value_kind:     by_value
      - .offset:         80
        .size:           4
        .value_kind:     hidden_block_count_x
      - .offset:         84
        .size:           4
        .value_kind:     hidden_block_count_y
      - .offset:         88
        .size:           4
        .value_kind:     hidden_block_count_z
      - .offset:         92
        .size:           2
        .value_kind:     hidden_group_size_x
      - .offset:         94
        .size:           2
        .value_kind:     hidden_group_size_y
      - .offset:         96
        .size:           2
        .value_kind:     hidden_group_size_z
      - .offset:         98
        .size:           2
        .value_kind:     hidden_remainder_x
      - .offset:         100
        .size:           2
        .value_kind:     hidden_remainder_y
      - .offset:         102
        .size:           2
        .value_kind:     hidden_remainder_z
      - .offset:         120
        .size:           8
        .value_kind:     hidden_global_offset_x
      - .offset:         128
        .size:           8
        .value_kind:     hidden_global_offset_y
      - .offset:         136
        .size:           8
        .value_kind:     hidden_global_offset_z
      - .offset:         144
        .size:           2
        .value_kind:     hidden_grid_dims
    .group_segment_fixed_size: 0
    .kernarg_segment_align: 8
    .kernarg_segment_size: 336
    .language:       OpenCL C
    .language_version:
      - 2
      - 0
    .max_flat_workgroup_size: 1024
    .name:           _Z15test_keystreamsPKcS0_S0_PKhPhS3_S3_S3_iii
    .private_segment_fixed_size: 144
    .sgpr_count:     32
    .sgpr_spill_count: 0
    .symbol:         _Z15test_keystreamsPKcS0_S0_PKhPhS3_S3_S3_iii.kd
    .uniform_work_group_size: 1
    .uses_dynamic_stack: false
    .vgpr_count:     63
    .vgpr_spill_count: 0
    .wavefront_size: 64
amdhsa.target:   amdgcn-amd-amdhsa--gfx950
amdhsa.version:
  - 1
  - 2
...

	.end_amdgpu_metadata
